;; amdgpu-corpus repo=zjin-lcf/HeCBench kind=compiled arch=gfx906 opt=O3
	.amdgcn_target "amdgcn-amd-amdhsa--gfx906"
	.amdhsa_code_object_version 6
	.text
	.protected	_Z2nePK15HIP_vector_typeIfLj3EEPS_IfLj4EEiii ; -- Begin function _Z2nePK15HIP_vector_typeIfLj3EEPS_IfLj4EEiii
	.globl	_Z2nePK15HIP_vector_typeIfLj3EEPS_IfLj4EEiii
	.p2align	8
	.type	_Z2nePK15HIP_vector_typeIfLj3EEPS_IfLj4EEiii,@function
_Z2nePK15HIP_vector_typeIfLj3EEPS_IfLj4EEiii: ; @_Z2nePK15HIP_vector_typeIfLj3EEPS_IfLj4EEiii
; %bb.0:
	s_load_dword s0, s[4:5], 0x2c
	s_load_dwordx4 s[8:11], s[4:5], 0x10
	s_waitcnt lgkmcnt(0)
	s_and_b32 s0, s0, 0xffff
	s_mul_i32 s6, s6, s0
	v_add_u32_e32 v7, s6, v0
	v_cmp_gt_i32_e32 vcc, s10, v7
	s_and_saveexec_b64 s[0:1], vcc
	s_cbranch_execz .LBB0_36
; %bb.1:
	s_load_dwordx4 s[0:3], s[4:5], 0x0
	v_ashrrev_i32_e32 v8, 31, v7
	v_mov_b32_e32 v0, 0
	v_mov_b32_e32 v1, 0
	;; [unrolled: 1-line block ×3, first 2 shown]
	s_waitcnt lgkmcnt(0)
	v_mad_i64_i32 v[9:10], s[4:5], v7, 12, s[0:1]
	v_mov_b32_e32 v3, 0
	global_load_dwordx3 v[4:6], v[9:10], off
	s_waitcnt vmcnt(0)
	v_cmp_o_f32_e32 vcc, v6, v6
	s_and_saveexec_b64 s[4:5], vcc
	s_cbranch_execz .LBB0_35
; %bb.2:
	s_abs_i32 s6, s8
	v_cvt_f32_u32_e32 v0, s6
	s_sub_i32 s7, 0, s6
	v_sub_u32_e32 v2, 0, v7
	v_max_i32_e32 v2, v7, v2
	v_rcp_iflag_f32_e32 v0, v0
	v_xor_b32_e32 v3, s8, v7
	v_ashrrev_i32_e32 v3, 31, v3
	s_mov_b64 s[10:11], 0
	v_mul_f32_e32 v0, 0x4f7ffffe, v0
	v_cvt_u32_f32_e32 v0, v0
	v_mul_lo_u32 v1, s7, v0
	v_mul_hi_u32 v1, v0, v1
	v_add_u32_e32 v0, v0, v1
	v_mul_hi_u32 v0, v2, v0
	v_mul_lo_u32 v1, v0, s6
	v_add_u32_e32 v11, 1, v0
	v_sub_u32_e32 v1, v2, v1
	v_cmp_le_u32_e32 vcc, s6, v1
	v_subrev_u32_e32 v2, s6, v1
	v_cndmask_b32_e32 v0, v0, v11, vcc
	v_cndmask_b32_e32 v1, v1, v2, vcc
	v_add_u32_e32 v2, 1, v0
	v_cmp_le_u32_e32 vcc, s6, v1
	v_cndmask_b32_e32 v0, v0, v2, vcc
	v_xor_b32_e32 v0, v0, v3
	v_sub_u32_e32 v0, v0, v3
	v_mul_lo_u32 v1, v0, s8
	s_mov_b64 s[6:7], 0
	v_sub_u32_e32 v1, v7, v1
	v_cmp_lt_i32_e32 vcc, 1, v1
	s_and_saveexec_b64 s[12:13], vcc
	s_cbranch_execz .LBB0_6
; %bb.3:
	global_load_dword v2, v[9:10], off offset:-4
	s_mov_b64 s[14:15], 0
	s_waitcnt vmcnt(0)
	v_cmp_o_f32_e32 vcc, v2, v2
	s_and_saveexec_b64 s[10:11], vcc
; %bb.4:
	v_sub_f32_e32 v2, v2, v6
	s_mov_b32 s14, 0x43480000
	v_cmp_lt_f32_e64 s[14:15], |v2|, s14
	s_and_b64 s[14:15], s[14:15], exec
; %bb.5:
	s_or_b64 exec, exec, s[10:11]
	s_and_b64 s[10:11], s[14:15], exec
.LBB0_6:
	s_or_b64 exec, exec, s[12:13]
	s_add_i32 s12, s8, -1
	v_cmp_gt_i32_e32 vcc, s12, v1
	s_and_saveexec_b64 s[12:13], vcc
	s_cbranch_execz .LBB0_10
; %bb.7:
	global_load_dword v1, v[9:10], off offset:20
	s_mov_b64 s[14:15], 0
	s_waitcnt vmcnt(0)
	v_cmp_o_f32_e32 vcc, v1, v1
	s_and_saveexec_b64 s[6:7], vcc
; %bb.8:
	v_sub_f32_e32 v1, v1, v6
	s_mov_b32 s14, 0x43480000
	v_cmp_lt_f32_e64 s[14:15], |v1|, s14
	s_and_b64 s[14:15], s[14:15], exec
; %bb.9:
	s_or_b64 exec, exec, s[6:7]
	s_and_b64 s[6:7], s[14:15], exec
.LBB0_10:
	s_or_b64 exec, exec, s[12:13]
	v_cmp_lt_i32_e32 vcc, 1, v0
	s_mov_b64 s[14:15], 0
	v_subrev_u32_e32 v11, s8, v7
	s_mov_b64 s[12:13], 0
	s_and_saveexec_b64 s[16:17], vcc
	s_cbranch_execz .LBB0_14
; %bb.11:
	v_mad_i64_i32 v[1:2], s[12:13], v11, 12, s[0:1]
	s_mov_b64 s[18:19], 0
	global_load_dword v1, v[1:2], off offset:8
	s_waitcnt vmcnt(0)
	v_cmp_o_f32_e32 vcc, v1, v1
	s_and_saveexec_b64 s[12:13], vcc
; %bb.12:
	v_sub_f32_e32 v1, v1, v6
	s_mov_b32 s18, 0x43480000
	v_cmp_lt_f32_e64 s[18:19], |v1|, s18
	s_and_b64 s[18:19], s[18:19], exec
; %bb.13:
	s_or_b64 exec, exec, s[12:13]
	s_and_b64 s[12:13], s[18:19], exec
.LBB0_14:
	s_or_b64 exec, exec, s[16:17]
	s_add_i32 s9, s9, -1
	v_cmp_gt_i32_e32 vcc, s9, v0
	s_and_saveexec_b64 s[16:17], vcc
	s_cbranch_execz .LBB0_18
; %bb.15:
	v_mad_i64_i32 v[0:1], s[14:15], s8, 12, v[9:10]
	s_mov_b64 s[18:19], 0
	global_load_dword v0, v[0:1], off offset:8
	s_waitcnt vmcnt(0)
	v_cmp_o_f32_e32 vcc, v0, v0
	s_and_saveexec_b64 s[14:15], vcc
; %bb.16:
	v_sub_f32_e32 v0, v0, v6
	s_mov_b32 s9, 0x43480000
	v_cmp_lt_f32_e64 s[18:19], |v0|, s9
	s_and_b64 s[18:19], s[18:19], exec
; %bb.17:
	s_or_b64 exec, exec, s[14:15]
	s_and_b64 s[14:15], s[18:19], exec
.LBB0_18:
	s_or_b64 exec, exec, s[16:17]
	v_cndmask_b32_e64 v2, 0, 1, s[10:11]
	v_cndmask_b32_e64 v0, 0, 1, s[6:7]
	v_and_b32_e32 v1, v0, v2
	v_and_b32_e32 v1, 1, v1
	v_cmp_eq_u32_e32 vcc, 1, v1
                                        ; implicit-def: $vgpr13
                                        ; implicit-def: $vgpr14
                                        ; implicit-def: $vgpr12
	s_and_saveexec_b64 s[16:17], vcc
	s_cbranch_execz .LBB0_20
; %bb.19:
	global_load_dwordx3 v[13:15], v[9:10], off offset:12
	global_load_dwordx3 v[16:18], v[9:10], off offset:-12
	s_waitcnt vmcnt(0)
	v_sub_f32_e32 v13, v13, v16
	v_sub_f32_e32 v14, v14, v17
	;; [unrolled: 1-line block ×3, first 2 shown]
.LBB0_20:
	s_or_b64 exec, exec, s[16:17]
	s_xor_b64 s[16:17], s[6:7], -1
	v_cndmask_b32_e64 v1, 0, 1, s[16:17]
	v_and_b32_e32 v2, v1, v2
	v_and_b32_e32 v2, 1, v2
	v_cmp_eq_u32_e32 vcc, 1, v2
	s_and_saveexec_b64 s[16:17], vcc
	s_cbranch_execz .LBB0_22
; %bb.21:
	global_load_dwordx3 v[13:15], v[9:10], off offset:-12
	s_waitcnt vmcnt(0)
	v_sub_f32_e32 v13, v4, v13
	v_sub_f32_e32 v14, v5, v14
	;; [unrolled: 1-line block ×3, first 2 shown]
.LBB0_22:
	s_or_b64 exec, exec, s[16:17]
	s_xor_b64 s[16:17], s[10:11], -1
	v_cndmask_b32_e64 v2, 0, 1, s[16:17]
	v_and_b32_e32 v0, v0, v2
	v_and_b32_e32 v0, 1, v0
	v_cmp_eq_u32_e32 vcc, 1, v0
	s_and_saveexec_b64 s[16:17], vcc
	s_cbranch_execz .LBB0_24
; %bb.23:
	global_load_dwordx3 v[13:15], v[9:10], off offset:12
	s_waitcnt vmcnt(0)
	v_sub_f32_e32 v13, v13, v4
	v_sub_f32_e32 v14, v14, v5
	v_sub_f32_e32 v12, v15, v6
.LBB0_24:
	s_or_b64 exec, exec, s[16:17]
	v_and_b32_e32 v0, v1, v2
	v_cmp_eq_u32_e32 vcc, 0, v0
	v_mov_b32_e32 v3, 1.0
	v_mov_b32_e32 v0, 0
	v_mov_b32_e32 v1, 0
	v_mov_b32_e32 v2, 0
	s_and_saveexec_b64 s[16:17], vcc
	s_cbranch_execz .LBB0_34
; %bb.25:
	v_cndmask_b32_e64 v2, 0, 1, s[14:15]
	v_cndmask_b32_e64 v0, 0, 1, s[12:13]
	v_and_b32_e32 v1, v2, v0
	v_and_b32_e32 v1, 1, v1
	v_cmp_eq_u32_e32 vcc, 1, v1
                                        ; implicit-def: $vgpr15
                                        ; implicit-def: $vgpr17
                                        ; implicit-def: $vgpr16
	s_and_saveexec_b64 s[18:19], vcc
	s_cbranch_execz .LBB0_27
; %bb.26:
	v_mad_i64_i32 v[22:23], s[20:21], v11, 12, s[0:1]
	v_mad_i64_i32 v[24:25], s[20:21], s8, 12, v[9:10]
	global_load_dwordx3 v[16:18], v[22:23], off
	global_load_dwordx3 v[19:21], v[24:25], off
	s_waitcnt vmcnt(0)
	v_sub_f32_e32 v16, v16, v19
	v_sub_f32_e32 v17, v17, v20
	;; [unrolled: 1-line block ×3, first 2 shown]
.LBB0_27:
	s_or_b64 exec, exec, s[18:19]
	s_xor_b64 s[18:19], s[12:13], -1
	v_cndmask_b32_e64 v1, 0, 1, s[18:19]
	v_and_b32_e32 v2, v2, v1
	v_and_b32_e32 v2, 1, v2
	v_cmp_eq_u32_e32 vcc, 1, v2
	s_and_saveexec_b64 s[18:19], vcc
	s_cbranch_execz .LBB0_29
; %bb.28:
	v_mad_i64_i32 v[2:3], s[8:9], s8, 12, v[9:10]
	global_load_dwordx3 v[16:18], v[2:3], off
	s_waitcnt vmcnt(0)
	v_sub_f32_e32 v16, v4, v16
	v_sub_f32_e32 v17, v5, v17
	;; [unrolled: 1-line block ×3, first 2 shown]
.LBB0_29:
	s_or_b64 exec, exec, s[18:19]
	s_xor_b64 s[8:9], s[14:15], -1
	v_cndmask_b32_e64 v2, 0, 1, s[8:9]
	v_and_b32_e32 v0, v2, v0
	v_and_b32_e32 v0, 1, v0
	v_cmp_eq_u32_e32 vcc, 1, v0
	s_and_saveexec_b64 s[14:15], vcc
	s_cbranch_execz .LBB0_31
; %bb.30:
	v_mad_i64_i32 v[9:10], s[0:1], v11, 12, s[0:1]
	global_load_dwordx3 v[9:11], v[9:10], off
	s_waitcnt vmcnt(0)
	v_sub_f32_e32 v16, v9, v4
	v_sub_f32_e32 v17, v10, v5
	;; [unrolled: 1-line block ×3, first 2 shown]
.LBB0_31:
	s_or_b64 exec, exec, s[14:15]
	v_and_b32_e32 v0, v2, v1
	v_cmp_eq_u32_e32 vcc, 0, v0
	v_mov_b32_e32 v3, 1.0
	v_mov_b32_e32 v0, 0
	v_mov_b32_e32 v1, 0
	;; [unrolled: 1-line block ×3, first 2 shown]
	s_and_saveexec_b64 s[14:15], vcc
	s_cbranch_execz .LBB0_33
; %bb.32:
	v_mul_f32_e32 v1, v13, v15
	v_mul_f32_e32 v0, v12, v17
	v_fma_f32 v1, v12, v16, -v1
	s_mov_b32 s18, 0x3d23d70a
	v_fma_f32 v0, v14, v15, -v0
	v_mul_f32_e32 v2, v14, v16
	v_mul_f32_e32 v3, v1, v1
	v_cmp_ngt_f32_e64 s[0:1], |v15|, s18
	v_fma_f32 v2, v13, v17, -v2
	v_fmac_f32_e32 v3, v0, v0
	s_and_b64 s[0:1], s[10:11], s[0:1]
	v_fmac_f32_e32 v3, v2, v2
	s_and_b64 s[0:1], s[6:7], s[0:1]
	s_mov_b32 s6, 0x800000
	v_mul_f32_e32 v10, 0x4b800000, v3
	v_cmp_gt_f32_e32 vcc, s6, v3
	v_cndmask_b32_e32 v3, v3, v10, vcc
	v_rsq_f32_e32 v10, v3
	s_and_b64 s[0:1], s[12:13], s[0:1]
	v_cmp_ngt_f32_e64 s[6:7], |v12|, s18
	v_cndmask_b32_e64 v9, 0, 1.0, s[8:9]
	s_and_b64 s[0:1], s[6:7], s[0:1]
	v_cndmask_b32_e64 v3, 1.0, v9, s[0:1]
	v_mul_f32_e32 v9, 0x45800000, v10
	v_cndmask_b32_e32 v9, v10, v9, vcc
	v_mul_f32_e32 v1, v1, v9
	v_mul_f32_e32 v0, v0, v9
	;; [unrolled: 1-line block ×4, first 2 shown]
	v_fmac_f32_e32 v5, v4, v0
	v_fmac_f32_e32 v5, v6, v2
	v_cmp_lt_f32_e32 vcc, 0, v5
	v_cndmask_b32_e64 v2, v2, -v2, vcc
	v_cndmask_b32_e64 v1, v1, -v1, vcc
	;; [unrolled: 1-line block ×3, first 2 shown]
.LBB0_33:
	s_or_b64 exec, exec, s[14:15]
.LBB0_34:
	s_or_b64 exec, exec, s[16:17]
.LBB0_35:
	s_or_b64 exec, exec, s[4:5]
	v_lshlrev_b64 v[4:5], 4, v[7:8]
	v_mov_b32_e32 v6, s3
	v_add_co_u32_e32 v4, vcc, s2, v4
	v_addc_co_u32_e32 v5, vcc, v6, v5, vcc
	global_store_dwordx4 v[4:5], v[0:3], off
.LBB0_36:
	s_endpgm
	.section	.rodata,"a",@progbits
	.p2align	6, 0x0
	.amdhsa_kernel _Z2nePK15HIP_vector_typeIfLj3EEPS_IfLj4EEiii
		.amdhsa_group_segment_fixed_size 0
		.amdhsa_private_segment_fixed_size 0
		.amdhsa_kernarg_size 288
		.amdhsa_user_sgpr_count 6
		.amdhsa_user_sgpr_private_segment_buffer 1
		.amdhsa_user_sgpr_dispatch_ptr 0
		.amdhsa_user_sgpr_queue_ptr 0
		.amdhsa_user_sgpr_kernarg_segment_ptr 1
		.amdhsa_user_sgpr_dispatch_id 0
		.amdhsa_user_sgpr_flat_scratch_init 0
		.amdhsa_user_sgpr_private_segment_size 0
		.amdhsa_uses_dynamic_stack 0
		.amdhsa_system_sgpr_private_segment_wavefront_offset 0
		.amdhsa_system_sgpr_workgroup_id_x 1
		.amdhsa_system_sgpr_workgroup_id_y 0
		.amdhsa_system_sgpr_workgroup_id_z 0
		.amdhsa_system_sgpr_workgroup_info 0
		.amdhsa_system_vgpr_workitem_id 0
		.amdhsa_next_free_vgpr 26
		.amdhsa_next_free_sgpr 22
		.amdhsa_reserve_vcc 1
		.amdhsa_reserve_flat_scratch 0
		.amdhsa_float_round_mode_32 0
		.amdhsa_float_round_mode_16_64 0
		.amdhsa_float_denorm_mode_32 3
		.amdhsa_float_denorm_mode_16_64 3
		.amdhsa_dx10_clamp 1
		.amdhsa_ieee_mode 1
		.amdhsa_fp16_overflow 0
		.amdhsa_exception_fp_ieee_invalid_op 0
		.amdhsa_exception_fp_denorm_src 0
		.amdhsa_exception_fp_ieee_div_zero 0
		.amdhsa_exception_fp_ieee_overflow 0
		.amdhsa_exception_fp_ieee_underflow 0
		.amdhsa_exception_fp_ieee_inexact 0
		.amdhsa_exception_int_div_zero 0
	.end_amdhsa_kernel
	.text
.Lfunc_end0:
	.size	_Z2nePK15HIP_vector_typeIfLj3EEPS_IfLj4EEiii, .Lfunc_end0-_Z2nePK15HIP_vector_typeIfLj3EEPS_IfLj4EEiii
                                        ; -- End function
	.set _Z2nePK15HIP_vector_typeIfLj3EEPS_IfLj4EEiii.num_vgpr, 26
	.set _Z2nePK15HIP_vector_typeIfLj3EEPS_IfLj4EEiii.num_agpr, 0
	.set _Z2nePK15HIP_vector_typeIfLj3EEPS_IfLj4EEiii.numbered_sgpr, 22
	.set _Z2nePK15HIP_vector_typeIfLj3EEPS_IfLj4EEiii.num_named_barrier, 0
	.set _Z2nePK15HIP_vector_typeIfLj3EEPS_IfLj4EEiii.private_seg_size, 0
	.set _Z2nePK15HIP_vector_typeIfLj3EEPS_IfLj4EEiii.uses_vcc, 1
	.set _Z2nePK15HIP_vector_typeIfLj3EEPS_IfLj4EEiii.uses_flat_scratch, 0
	.set _Z2nePK15HIP_vector_typeIfLj3EEPS_IfLj4EEiii.has_dyn_sized_stack, 0
	.set _Z2nePK15HIP_vector_typeIfLj3EEPS_IfLj4EEiii.has_recursion, 0
	.set _Z2nePK15HIP_vector_typeIfLj3EEPS_IfLj4EEiii.has_indirect_call, 0
	.section	.AMDGPU.csdata,"",@progbits
; Kernel info:
; codeLenInByte = 1300
; TotalNumSgprs: 26
; NumVgprs: 26
; ScratchSize: 0
; MemoryBound: 0
; FloatMode: 240
; IeeeMode: 1
; LDSByteSize: 0 bytes/workgroup (compile time only)
; SGPRBlocks: 3
; VGPRBlocks: 6
; NumSGPRsForWavesPerEU: 26
; NumVGPRsForWavesPerEU: 26
; Occupancy: 9
; WaveLimiterHint : 0
; COMPUTE_PGM_RSRC2:SCRATCH_EN: 0
; COMPUTE_PGM_RSRC2:USER_SGPR: 6
; COMPUTE_PGM_RSRC2:TRAP_HANDLER: 0
; COMPUTE_PGM_RSRC2:TGID_X_EN: 1
; COMPUTE_PGM_RSRC2:TGID_Y_EN: 0
; COMPUTE_PGM_RSRC2:TGID_Z_EN: 0
; COMPUTE_PGM_RSRC2:TIDIG_COMP_CNT: 0
	.section	.AMDGPU.gpr_maximums,"",@progbits
	.set amdgpu.max_num_vgpr, 0
	.set amdgpu.max_num_agpr, 0
	.set amdgpu.max_num_sgpr, 0
	.section	.AMDGPU.csdata,"",@progbits
	.type	__hip_cuid_5cb0b75fb8d8b64f,@object ; @__hip_cuid_5cb0b75fb8d8b64f
	.section	.bss,"aw",@nobits
	.globl	__hip_cuid_5cb0b75fb8d8b64f
__hip_cuid_5cb0b75fb8d8b64f:
	.byte	0                               ; 0x0
	.size	__hip_cuid_5cb0b75fb8d8b64f, 1

	.ident	"AMD clang version 22.0.0git (https://github.com/RadeonOpenCompute/llvm-project roc-7.2.4 26084 f58b06dce1f9c15707c5f808fd002e18c2accf7e)"
	.section	".note.GNU-stack","",@progbits
	.addrsig
	.addrsig_sym __hip_cuid_5cb0b75fb8d8b64f
	.amdgpu_metadata
---
amdhsa.kernels:
  - .args:
      - .actual_access:  read_only
        .address_space:  global
        .offset:         0
        .size:           8
        .value_kind:     global_buffer
      - .actual_access:  write_only
        .address_space:  global
        .offset:         8
        .size:           8
        .value_kind:     global_buffer
      - .offset:         16
        .size:           4
        .value_kind:     by_value
      - .offset:         20
        .size:           4
        .value_kind:     by_value
      - .offset:         24
        .size:           4
        .value_kind:     by_value
      - .offset:         32
        .size:           4
        .value_kind:     hidden_block_count_x
      - .offset:         36
        .size:           4
        .value_kind:     hidden_block_count_y
      - .offset:         40
        .size:           4
        .value_kind:     hidden_block_count_z
      - .offset:         44
        .size:           2
        .value_kind:     hidden_group_size_x
      - .offset:         46
        .size:           2
        .value_kind:     hidden_group_size_y
      - .offset:         48
        .size:           2
        .value_kind:     hidden_group_size_z
      - .offset:         50
        .size:           2
        .value_kind:     hidden_remainder_x
      - .offset:         52
        .size:           2
        .value_kind:     hidden_remainder_y
      - .offset:         54
        .size:           2
        .value_kind:     hidden_remainder_z
      - .offset:         72
        .size:           8
        .value_kind:     hidden_global_offset_x
      - .offset:         80
        .size:           8
        .value_kind:     hidden_global_offset_y
      - .offset:         88
        .size:           8
        .value_kind:     hidden_global_offset_z
      - .offset:         96
        .size:           2
        .value_kind:     hidden_grid_dims
    .group_segment_fixed_size: 0
    .kernarg_segment_align: 8
    .kernarg_segment_size: 288
    .language:       OpenCL C
    .language_version:
      - 2
      - 0
    .max_flat_workgroup_size: 1024
    .name:           _Z2nePK15HIP_vector_typeIfLj3EEPS_IfLj4EEiii
    .private_segment_fixed_size: 0
    .sgpr_count:     26
    .sgpr_spill_count: 0
    .symbol:         _Z2nePK15HIP_vector_typeIfLj3EEPS_IfLj4EEiii.kd
    .uniform_work_group_size: 1
    .uses_dynamic_stack: false
    .vgpr_count:     26
    .vgpr_spill_count: 0
    .wavefront_size: 64
amdhsa.target:   amdgcn-amd-amdhsa--gfx906
amdhsa.version:
  - 1
  - 2
...

	.end_amdgpu_metadata
